;; amdgpu-corpus repo=ROCm/vllm kind=compiled arch=gfx1030 opt=O3
	.amdgcn_target "amdgcn-amd-amdhsa--gfx1030"
	.amdhsa_code_object_version 6
	.section	.text._ZN4vllm24merge_attn_states_kernelIfLj128EEEvPT_PfPKS1_PKfS5_S7_jjj,"axG",@progbits,_ZN4vllm24merge_attn_states_kernelIfLj128EEEvPT_PfPKS1_PKfS5_S7_jjj,comdat
	.protected	_ZN4vllm24merge_attn_states_kernelIfLj128EEEvPT_PfPKS1_PKfS5_S7_jjj ; -- Begin function _ZN4vllm24merge_attn_states_kernelIfLj128EEEvPT_PfPKS1_PKfS5_S7_jjj
	.globl	_ZN4vllm24merge_attn_states_kernelIfLj128EEEvPT_PfPKS1_PKfS5_S7_jjj
	.p2align	8
	.type	_ZN4vllm24merge_attn_states_kernelIfLj128EEEvPT_PfPKS1_PKfS5_S7_jjj,@function
_ZN4vllm24merge_attn_states_kernelIfLj128EEEvPT_PfPKS1_PKfS5_S7_jjj: ; @_ZN4vllm24merge_attn_states_kernelIfLj128EEEvPT_PfPKS1_PKfS5_S7_jjj
; %bb.0:
	s_load_dwordx4 s[0:3], s[4:5], 0x30
	v_lshl_add_u32 v2, s6, 7, v0
	s_waitcnt lgkmcnt(0)
	s_lshr_b32 s3, s2, 2
	s_mul_i32 s6, s1, s0
	s_mul_i32 s6, s6, s3
	v_cmp_gt_u32_e32 vcc_lo, s6, v2
	s_and_saveexec_b32 s6, vcc_lo
	s_cbranch_execz .LBB0_5
; %bb.1:
	v_cvt_f32_u32_e32 v0, s3
	s_sub_i32 s6, 0, s3
	v_cvt_f32_u32_e32 v3, s1
	s_load_dwordx4 s[12:15], s[4:5], 0x20
	v_rcp_iflag_f32_e32 v0, v0
	v_rcp_iflag_f32_e32 v3, v3
	v_mul_f32_e32 v0, 0x4f7ffffe, v0
	v_cvt_u32_f32_e32 v0, v0
	v_mul_lo_u32 v1, s6, v0
	s_sub_i32 s6, 0, s1
	v_mul_hi_u32 v1, v0, v1
	v_add_nc_u32_e32 v0, v0, v1
	v_mul_f32_e32 v1, 0x4f7ffffe, v3
	v_mul_hi_u32 v0, v2, v0
	v_cvt_u32_f32_e32 v1, v1
	v_mul_lo_u32 v4, s6, v1
	s_load_dwordx8 s[4:11], s[4:5], 0x0
	v_mul_lo_u32 v3, v0, s3
	v_add_nc_u32_e32 v5, 1, v0
	v_mul_hi_u32 v4, v1, v4
	v_sub_nc_u32_e32 v3, v2, v3
	v_subrev_nc_u32_e32 v6, s3, v3
	v_cmp_le_u32_e32 vcc_lo, s3, v3
	v_add_nc_u32_e32 v1, v1, v4
	v_cndmask_b32_e32 v0, v0, v5, vcc_lo
	v_cndmask_b32_e32 v3, v3, v6, vcc_lo
	v_add_nc_u32_e32 v5, 1, v0
	v_cmp_le_u32_e32 vcc_lo, s3, v3
	v_cndmask_b32_e32 v3, v0, v5, vcc_lo
	v_mul_hi_u32 v0, v3, v1
	v_mul_lo_u32 v1, v0, s1
	v_add_nc_u32_e32 v4, 1, v0
	v_sub_nc_u32_e32 v1, v3, v1
	v_subrev_nc_u32_e32 v5, s1, v1
	v_cmp_le_u32_e32 vcc_lo, s1, v1
	v_cndmask_b32_e32 v0, v0, v4, vcc_lo
	v_cndmask_b32_e32 v1, v1, v5, vcc_lo
	v_add_nc_u32_e32 v4, 1, v0
	v_cmp_le_u32_e32 vcc_lo, s1, v1
	v_cndmask_b32_e32 v0, v0, v4, vcc_lo
	v_mul_lo_u32 v1, v0, s1
	s_mov_b32 s1, exec_lo
	v_sub_nc_u32_e32 v1, v3, v1
	v_mad_u64_u32 v[4:5], null, v1, s0, v[0:1]
	v_mov_b32_e32 v5, 0
	v_lshlrev_b64 v[0:1], 2, v[4:5]
	s_waitcnt lgkmcnt(0)
	v_add_co_u32 v6, vcc_lo, s14, v0
	v_add_co_ci_u32_e64 v7, null, s15, v1, vcc_lo
	v_add_co_u32 v8, vcc_lo, s10, v0
	v_add_co_ci_u32_e64 v9, null, s11, v1, vcc_lo
	global_load_dword v4, v[6:7], off
	global_load_dword v6, v[8:9], off
	s_waitcnt vmcnt(1)
	v_cmp_neq_f32_e64 vcc_lo, 0x7f800000, |v4|
	v_cndmask_b32_e32 v4, 0xff800000, v4, vcc_lo
	s_waitcnt vmcnt(0)
	v_cmp_neq_f32_e64 vcc_lo, 0x7f800000, |v6|
	v_cndmask_b32_e32 v7, 0xff800000, v6, vcc_lo
	v_max_f32_e32 v6, v4, v4
	v_max_f32_e32 v8, v7, v7
	v_max_f32_e32 v6, v8, v6
	v_sub_f32_e32 v7, v7, v6
	v_sub_f32_e32 v4, v4, v6
	v_mul_f32_e32 v8, 0x3fb8aa3b, v7
	v_mul_f32_e32 v9, 0x3fb8aa3b, v4
	v_cmp_ngt_f32_e32 vcc_lo, 0xc2ce8ed0, v7
	v_fma_f32 v10, 0x3fb8aa3b, v7, -v8
	v_rndne_f32_e32 v11, v8
	v_fma_f32 v12, 0x3fb8aa3b, v4, -v9
	v_rndne_f32_e32 v13, v9
	v_fmac_f32_e32 v10, 0x32a5705f, v7
	v_sub_f32_e32 v8, v8, v11
	v_fmac_f32_e32 v12, 0x32a5705f, v4
	v_sub_f32_e32 v9, v9, v13
	v_add_f32_e32 v8, v8, v10
	v_cvt_i32_f32_e32 v10, v11
	v_add_f32_e32 v9, v9, v12
	v_cvt_i32_f32_e32 v11, v13
	v_mul_lo_u32 v12, v3, s3
	v_exp_f32_e32 v8, v8
	v_exp_f32_e32 v9, v9
	v_sub_nc_u32_e32 v2, v2, v12
	v_ldexp_f32 v8, v8, v10
	v_ldexp_f32 v9, v9, v11
	v_cndmask_b32_e32 v8, 0, v8, vcc_lo
	v_cmp_ngt_f32_e32 vcc_lo, 0xc2ce8ed0, v4
	v_cndmask_b32_e32 v9, 0, v9, vcc_lo
	v_cmp_nlt_f32_e32 vcc_lo, 0x42b17218, v7
	v_cndmask_b32_e32 v8, 0x7f800000, v8, vcc_lo
	v_cmp_nlt_f32_e32 vcc_lo, 0x42b17218, v4
	v_lshlrev_b32_e32 v4, 2, v2
	v_cndmask_b32_e32 v9, 0x7f800000, v9, vcc_lo
	v_add_f32_e32 v7, v8, v9
	v_cmpx_gt_u32_e64 s2, v4
	s_cbranch_execz .LBB0_3
; %bb.2:
	v_mul_lo_u32 v4, v3, s2
	v_mov_b32_e32 v3, v5
	v_div_scale_f32 v20, null, v7, v7, v8
	v_lshlrev_b64 v[18:19], 4, v[2:3]
	v_rcp_f32_e32 v22, v20
	v_lshlrev_b64 v[4:5], 2, v[4:5]
	v_add_co_u32 v3, vcc_lo, s12, v4
	v_add_co_ci_u32_e64 v11, null, s13, v5, vcc_lo
	v_fma_f32 v24, -v20, v22, 1.0
	v_add_co_u32 v10, vcc_lo, v3, v18
	v_add_co_ci_u32_e64 v11, null, v11, v19, vcc_lo
	v_add_co_u32 v3, vcc_lo, s8, v4
	v_add_co_ci_u32_e64 v15, null, s9, v5, vcc_lo
	global_load_dwordx4 v[10:13], v[10:11], off
	v_add_co_u32 v14, vcc_lo, v3, v18
	v_add_co_ci_u32_e64 v15, null, v15, v19, vcc_lo
	v_div_scale_f32 v3, null, v7, v7, v9
	v_div_scale_f32 v25, vcc_lo, v9, v7, v9
	global_load_dwordx4 v[14:17], v[14:15], off
	v_rcp_f32_e32 v21, v3
	v_fmac_f32_e32 v22, v24, v22
	v_fma_f32 v23, -v3, v21, 1.0
	v_fmac_f32_e32 v21, v23, v21
	v_div_scale_f32 v23, s0, v8, v7, v8
	v_mul_f32_e32 v24, v25, v21
	v_mul_f32_e32 v26, v23, v22
	v_fma_f32 v27, -v3, v24, v25
	v_fma_f32 v28, -v20, v26, v23
	v_fmac_f32_e32 v24, v27, v21
	v_fmac_f32_e32 v26, v28, v22
	v_fma_f32 v3, -v3, v24, v25
	v_fma_f32 v20, -v20, v26, v23
	v_div_fmas_f32 v3, v3, v21, v24
	s_mov_b32 vcc_lo, s0
	v_div_fmas_f32 v20, v20, v22, v26
	v_div_fixup_f32 v3, v3, v7, v9
	v_div_fixup_f32 v20, v20, v7, v8
	s_waitcnt vmcnt(1)
	v_mul_f32_e32 v8, v3, v10
	v_mul_f32_e32 v9, v3, v11
	;; [unrolled: 1-line block ×4, first 2 shown]
	v_add_co_u32 v3, vcc_lo, s4, v4
	v_add_co_ci_u32_e64 v4, null, s5, v5, vcc_lo
	v_add_co_u32 v3, vcc_lo, v3, v18
	s_waitcnt vmcnt(0)
	v_fmac_f32_e32 v8, v20, v14
	v_fmac_f32_e32 v9, v20, v15
	;; [unrolled: 1-line block ×4, first 2 shown]
	v_add_co_ci_u32_e64 v4, null, v4, v19, vcc_lo
	global_store_dwordx4 v[3:4], v[8:11], off
.LBB0_3:
	s_or_b32 exec_lo, exec_lo, s1
	v_cmp_eq_u32_e32 vcc_lo, 0, v2
	s_cmp_lg_u64 s[6:7], 0
	s_cselect_b32 s0, -1, 0
	s_and_b32 s0, s0, vcc_lo
	s_and_b32 exec_lo, exec_lo, s0
	s_cbranch_execz .LBB0_5
; %bb.4:
	v_cmp_gt_f32_e32 vcc_lo, 0x800000, v7
	v_cndmask_b32_e64 v2, 0, 32, vcc_lo
	v_ldexp_f32 v2, v7, v2
	v_log_f32_e32 v2, v2
	v_mul_f32_e32 v3, 0x3f317217, v2
	v_cmp_gt_f32_e64 s0, 0x7f800000, |v2|
	v_fma_f32 v3, 0x3f317217, v2, -v3
	v_fmamk_f32 v3, v2, 0x3377d1cf, v3
	v_fmac_f32_e32 v3, 0x3f317217, v2
	v_cndmask_b32_e64 v2, v2, v3, s0
	v_cndmask_b32_e64 v3, 0, 0x41b17218, vcc_lo
	v_add_co_u32 v0, vcc_lo, s6, v0
	v_add_co_ci_u32_e64 v1, null, s7, v1, vcc_lo
	v_sub_f32_e32 v2, v2, v3
	v_add_f32_e32 v2, v6, v2
	global_store_dword v[0:1], v2, off
.LBB0_5:
	s_endpgm
	.section	.rodata,"a",@progbits
	.p2align	6, 0x0
	.amdhsa_kernel _ZN4vllm24merge_attn_states_kernelIfLj128EEEvPT_PfPKS1_PKfS5_S7_jjj
		.amdhsa_group_segment_fixed_size 0
		.amdhsa_private_segment_fixed_size 0
		.amdhsa_kernarg_size 60
		.amdhsa_user_sgpr_count 6
		.amdhsa_user_sgpr_private_segment_buffer 1
		.amdhsa_user_sgpr_dispatch_ptr 0
		.amdhsa_user_sgpr_queue_ptr 0
		.amdhsa_user_sgpr_kernarg_segment_ptr 1
		.amdhsa_user_sgpr_dispatch_id 0
		.amdhsa_user_sgpr_flat_scratch_init 0
		.amdhsa_user_sgpr_private_segment_size 0
		.amdhsa_wavefront_size32 1
		.amdhsa_uses_dynamic_stack 0
		.amdhsa_system_sgpr_private_segment_wavefront_offset 0
		.amdhsa_system_sgpr_workgroup_id_x 1
		.amdhsa_system_sgpr_workgroup_id_y 0
		.amdhsa_system_sgpr_workgroup_id_z 0
		.amdhsa_system_sgpr_workgroup_info 0
		.amdhsa_system_vgpr_workitem_id 0
		.amdhsa_next_free_vgpr 29
		.amdhsa_next_free_sgpr 16
		.amdhsa_reserve_vcc 1
		.amdhsa_reserve_flat_scratch 0
		.amdhsa_float_round_mode_32 0
		.amdhsa_float_round_mode_16_64 0
		.amdhsa_float_denorm_mode_32 3
		.amdhsa_float_denorm_mode_16_64 3
		.amdhsa_dx10_clamp 1
		.amdhsa_ieee_mode 1
		.amdhsa_fp16_overflow 0
		.amdhsa_workgroup_processor_mode 1
		.amdhsa_memory_ordered 1
		.amdhsa_forward_progress 1
		.amdhsa_shared_vgpr_count 0
		.amdhsa_exception_fp_ieee_invalid_op 0
		.amdhsa_exception_fp_denorm_src 0
		.amdhsa_exception_fp_ieee_div_zero 0
		.amdhsa_exception_fp_ieee_overflow 0
		.amdhsa_exception_fp_ieee_underflow 0
		.amdhsa_exception_fp_ieee_inexact 0
		.amdhsa_exception_int_div_zero 0
	.end_amdhsa_kernel
	.section	.text._ZN4vllm24merge_attn_states_kernelIfLj128EEEvPT_PfPKS1_PKfS5_S7_jjj,"axG",@progbits,_ZN4vllm24merge_attn_states_kernelIfLj128EEEvPT_PfPKS1_PKfS5_S7_jjj,comdat
.Lfunc_end0:
	.size	_ZN4vllm24merge_attn_states_kernelIfLj128EEEvPT_PfPKS1_PKfS5_S7_jjj, .Lfunc_end0-_ZN4vllm24merge_attn_states_kernelIfLj128EEEvPT_PfPKS1_PKfS5_S7_jjj
                                        ; -- End function
	.set _ZN4vllm24merge_attn_states_kernelIfLj128EEEvPT_PfPKS1_PKfS5_S7_jjj.num_vgpr, 29
	.set _ZN4vllm24merge_attn_states_kernelIfLj128EEEvPT_PfPKS1_PKfS5_S7_jjj.num_agpr, 0
	.set _ZN4vllm24merge_attn_states_kernelIfLj128EEEvPT_PfPKS1_PKfS5_S7_jjj.numbered_sgpr, 16
	.set _ZN4vllm24merge_attn_states_kernelIfLj128EEEvPT_PfPKS1_PKfS5_S7_jjj.num_named_barrier, 0
	.set _ZN4vllm24merge_attn_states_kernelIfLj128EEEvPT_PfPKS1_PKfS5_S7_jjj.private_seg_size, 0
	.set _ZN4vllm24merge_attn_states_kernelIfLj128EEEvPT_PfPKS1_PKfS5_S7_jjj.uses_vcc, 1
	.set _ZN4vllm24merge_attn_states_kernelIfLj128EEEvPT_PfPKS1_PKfS5_S7_jjj.uses_flat_scratch, 0
	.set _ZN4vllm24merge_attn_states_kernelIfLj128EEEvPT_PfPKS1_PKfS5_S7_jjj.has_dyn_sized_stack, 0
	.set _ZN4vllm24merge_attn_states_kernelIfLj128EEEvPT_PfPKS1_PKfS5_S7_jjj.has_recursion, 0
	.set _ZN4vllm24merge_attn_states_kernelIfLj128EEEvPT_PfPKS1_PKfS5_S7_jjj.has_indirect_call, 0
	.section	.AMDGPU.csdata,"",@progbits
; Kernel info:
; codeLenInByte = 1104
; TotalNumSgprs: 18
; NumVgprs: 29
; ScratchSize: 0
; MemoryBound: 0
; FloatMode: 240
; IeeeMode: 1
; LDSByteSize: 0 bytes/workgroup (compile time only)
; SGPRBlocks: 0
; VGPRBlocks: 3
; NumSGPRsForWavesPerEU: 18
; NumVGPRsForWavesPerEU: 29
; Occupancy: 16
; WaveLimiterHint : 0
; COMPUTE_PGM_RSRC2:SCRATCH_EN: 0
; COMPUTE_PGM_RSRC2:USER_SGPR: 6
; COMPUTE_PGM_RSRC2:TRAP_HANDLER: 0
; COMPUTE_PGM_RSRC2:TGID_X_EN: 1
; COMPUTE_PGM_RSRC2:TGID_Y_EN: 0
; COMPUTE_PGM_RSRC2:TGID_Z_EN: 0
; COMPUTE_PGM_RSRC2:TIDIG_COMP_CNT: 0
	.section	.text._ZN4vllm24merge_attn_states_kernelItLj128EEEvPT_PfPKS1_PKfS5_S7_jjj,"axG",@progbits,_ZN4vllm24merge_attn_states_kernelItLj128EEEvPT_PfPKS1_PKfS5_S7_jjj,comdat
	.protected	_ZN4vllm24merge_attn_states_kernelItLj128EEEvPT_PfPKS1_PKfS5_S7_jjj ; -- Begin function _ZN4vllm24merge_attn_states_kernelItLj128EEEvPT_PfPKS1_PKfS5_S7_jjj
	.globl	_ZN4vllm24merge_attn_states_kernelItLj128EEEvPT_PfPKS1_PKfS5_S7_jjj
	.p2align	8
	.type	_ZN4vllm24merge_attn_states_kernelItLj128EEEvPT_PfPKS1_PKfS5_S7_jjj,@function
_ZN4vllm24merge_attn_states_kernelItLj128EEEvPT_PfPKS1_PKfS5_S7_jjj: ; @_ZN4vllm24merge_attn_states_kernelItLj128EEEvPT_PfPKS1_PKfS5_S7_jjj
; %bb.0:
	s_load_dwordx4 s[0:3], s[4:5], 0x30
	v_lshl_add_u32 v2, s6, 7, v0
	s_waitcnt lgkmcnt(0)
	s_lshr_b32 s3, s2, 3
	s_mul_i32 s6, s1, s0
	s_mul_i32 s6, s6, s3
	v_cmp_gt_u32_e32 vcc_lo, s6, v2
	s_and_saveexec_b32 s6, vcc_lo
	s_cbranch_execz .LBB1_5
; %bb.1:
	v_cvt_f32_u32_e32 v0, s3
	s_sub_i32 s6, 0, s3
	v_cvt_f32_u32_e32 v3, s1
	s_load_dwordx4 s[12:15], s[4:5], 0x20
	v_rcp_iflag_f32_e32 v0, v0
	v_rcp_iflag_f32_e32 v3, v3
	v_mul_f32_e32 v0, 0x4f7ffffe, v0
	v_cvt_u32_f32_e32 v0, v0
	v_mul_lo_u32 v1, s6, v0
	s_sub_i32 s6, 0, s1
	v_mul_hi_u32 v1, v0, v1
	v_add_nc_u32_e32 v0, v0, v1
	v_mul_f32_e32 v1, 0x4f7ffffe, v3
	v_mul_hi_u32 v0, v2, v0
	v_cvt_u32_f32_e32 v1, v1
	v_mul_lo_u32 v4, s6, v1
	s_load_dwordx8 s[4:11], s[4:5], 0x0
	v_mul_lo_u32 v3, v0, s3
	v_add_nc_u32_e32 v5, 1, v0
	v_mul_hi_u32 v4, v1, v4
	v_sub_nc_u32_e32 v3, v2, v3
	v_subrev_nc_u32_e32 v6, s3, v3
	v_cmp_le_u32_e32 vcc_lo, s3, v3
	v_add_nc_u32_e32 v1, v1, v4
	v_cndmask_b32_e32 v0, v0, v5, vcc_lo
	v_cndmask_b32_e32 v3, v3, v6, vcc_lo
	v_add_nc_u32_e32 v5, 1, v0
	v_cmp_le_u32_e32 vcc_lo, s3, v3
	v_cndmask_b32_e32 v3, v0, v5, vcc_lo
	v_mul_hi_u32 v0, v3, v1
	v_mul_lo_u32 v1, v0, s1
	v_add_nc_u32_e32 v4, 1, v0
	v_sub_nc_u32_e32 v1, v3, v1
	v_subrev_nc_u32_e32 v5, s1, v1
	v_cmp_le_u32_e32 vcc_lo, s1, v1
	v_cndmask_b32_e32 v0, v0, v4, vcc_lo
	v_cndmask_b32_e32 v1, v1, v5, vcc_lo
	v_add_nc_u32_e32 v4, 1, v0
	v_cmp_le_u32_e32 vcc_lo, s1, v1
	v_cndmask_b32_e32 v0, v0, v4, vcc_lo
	v_mul_lo_u32 v1, v0, s1
	s_mov_b32 s1, exec_lo
	v_sub_nc_u32_e32 v1, v3, v1
	v_mad_u64_u32 v[4:5], null, v1, s0, v[0:1]
	v_mov_b32_e32 v5, 0
	v_lshlrev_b64 v[0:1], 2, v[4:5]
	s_waitcnt lgkmcnt(0)
	v_add_co_u32 v6, vcc_lo, s14, v0
	v_add_co_ci_u32_e64 v7, null, s15, v1, vcc_lo
	v_add_co_u32 v8, vcc_lo, s10, v0
	v_add_co_ci_u32_e64 v9, null, s11, v1, vcc_lo
	global_load_dword v4, v[6:7], off
	global_load_dword v6, v[8:9], off
	s_waitcnt vmcnt(1)
	v_cmp_neq_f32_e64 vcc_lo, 0x7f800000, |v4|
	v_cndmask_b32_e32 v4, 0xff800000, v4, vcc_lo
	s_waitcnt vmcnt(0)
	v_cmp_neq_f32_e64 vcc_lo, 0x7f800000, |v6|
	v_cndmask_b32_e32 v7, 0xff800000, v6, vcc_lo
	v_max_f32_e32 v6, v4, v4
	v_max_f32_e32 v8, v7, v7
	;; [unrolled: 1-line block ×3, first 2 shown]
	v_sub_f32_e32 v7, v7, v6
	v_sub_f32_e32 v4, v4, v6
	v_mul_f32_e32 v8, 0x3fb8aa3b, v7
	v_mul_f32_e32 v9, 0x3fb8aa3b, v4
	v_cmp_ngt_f32_e32 vcc_lo, 0xc2ce8ed0, v7
	v_fma_f32 v10, 0x3fb8aa3b, v7, -v8
	v_rndne_f32_e32 v11, v8
	v_fma_f32 v12, 0x3fb8aa3b, v4, -v9
	v_rndne_f32_e32 v13, v9
	v_fmac_f32_e32 v10, 0x32a5705f, v7
	v_sub_f32_e32 v8, v8, v11
	v_fmac_f32_e32 v12, 0x32a5705f, v4
	v_sub_f32_e32 v9, v9, v13
	v_add_f32_e32 v8, v8, v10
	v_cvt_i32_f32_e32 v10, v11
	v_add_f32_e32 v9, v9, v12
	v_cvt_i32_f32_e32 v11, v13
	v_mul_lo_u32 v12, v3, s3
	v_exp_f32_e32 v8, v8
	v_exp_f32_e32 v9, v9
	v_sub_nc_u32_e32 v2, v2, v12
	v_ldexp_f32 v8, v8, v10
	v_ldexp_f32 v9, v9, v11
	v_cndmask_b32_e32 v8, 0, v8, vcc_lo
	v_cmp_ngt_f32_e32 vcc_lo, 0xc2ce8ed0, v4
	v_cndmask_b32_e32 v9, 0, v9, vcc_lo
	v_cmp_nlt_f32_e32 vcc_lo, 0x42b17218, v7
	v_cndmask_b32_e32 v8, 0x7f800000, v8, vcc_lo
	v_cmp_nlt_f32_e32 vcc_lo, 0x42b17218, v4
	v_lshlrev_b32_e32 v4, 3, v2
	v_cndmask_b32_e32 v9, 0x7f800000, v9, vcc_lo
	v_add_f32_e32 v7, v8, v9
	v_cmpx_gt_u32_e64 s2, v4
	s_cbranch_execz .LBB1_3
; %bb.2:
	v_mul_lo_u32 v4, v3, s2
	v_mov_b32_e32 v3, v5
	v_div_scale_f32 v20, null, v7, v7, v8
	v_lshlrev_b64 v[18:19], 4, v[2:3]
	v_rcp_f32_e32 v22, v20
	v_lshlrev_b64 v[4:5], 1, v[4:5]
	v_add_co_u32 v3, vcc_lo, s8, v4
	v_add_co_ci_u32_e64 v11, null, s9, v5, vcc_lo
	v_add_co_u32 v12, vcc_lo, s12, v4
	v_add_co_ci_u32_e64 v13, null, s13, v5, vcc_lo
	;; [unrolled: 2-line block ×4, first 2 shown]
	global_load_dwordx4 v[10:13], v[10:11], off
	global_load_dwordx4 v[14:17], v[14:15], off
	v_div_scale_f32 v3, null, v7, v7, v9
	v_fma_f32 v24, -v20, v22, 1.0
	v_div_scale_f32 v25, vcc_lo, v9, v7, v9
	v_rcp_f32_e32 v21, v3
	v_fmac_f32_e32 v22, v24, v22
	v_fma_f32 v23, -v3, v21, 1.0
	v_fmac_f32_e32 v21, v23, v21
	v_div_scale_f32 v23, s0, v8, v7, v8
	v_mul_f32_e32 v24, v25, v21
	v_mul_f32_e32 v26, v23, v22
	v_fma_f32 v27, -v3, v24, v25
	v_fma_f32 v28, -v20, v26, v23
	v_fmac_f32_e32 v24, v27, v21
	v_fmac_f32_e32 v26, v28, v22
	v_fma_f32 v3, -v3, v24, v25
	v_fma_f32 v20, -v20, v26, v23
	v_div_fmas_f32 v3, v3, v21, v24
	s_mov_b32 vcc_lo, s0
	v_div_fmas_f32 v20, v20, v22, v26
	v_div_fixup_f32 v3, v3, v7, v9
	v_div_fixup_f32 v8, v20, v7, v8
	s_waitcnt vmcnt(1)
	v_and_b32_e32 v21, 0xffff, v10
	s_waitcnt vmcnt(0)
	v_and_b32_e32 v22, 0xffff, v14
	;;#ASMSTART
	v_cvt_f32_f16 v9, v21;
	;;#ASMEND
	;;#ASMSTART
	v_cvt_f32_f16 v20, v22;
	;;#ASMEND
	v_mul_f32_e32 v20, v3, v20
	v_lshrrev_b32_e32 v10, 16, v10
	v_lshrrev_b32_e32 v14, 16, v14
	v_and_b32_e32 v21, 0xffff, v15
	v_lshrrev_b32_e32 v15, 16, v15
	v_fmac_f32_e32 v20, v8, v9
	;;#ASMSTART
	v_cvt_f16_f32 v9, v20;

	;;#ASMEND
	;;#ASMSTART
	v_cvt_f32_f16 v10, v10;
	;;#ASMEND
	;;#ASMSTART
	v_cvt_f32_f16 v14, v14;
	;;#ASMEND
	v_mul_f32_e32 v14, v3, v14
	v_and_b32_e32 v20, 0xffff, v11
	v_fmac_f32_e32 v14, v8, v10
	;;#ASMSTART
	v_cvt_f16_f32 v10, v14;

	;;#ASMEND
	;;#ASMSTART
	v_cvt_f32_f16 v14, v20;
	;;#ASMEND
	;;#ASMSTART
	v_cvt_f32_f16 v20, v21;
	;;#ASMEND
	v_mul_f32_e32 v20, v3, v20
	v_and_b32_e32 v21, 0xffff, v16
	v_lshrrev_b32_e32 v16, 16, v16
	v_fmac_f32_e32 v20, v8, v14
	v_lshrrev_b32_e32 v14, 16, v11
	;;#ASMSTART
	v_cvt_f16_f32 v11, v20;

	;;#ASMEND
	;;#ASMSTART
	v_cvt_f32_f16 v14, v14;
	;;#ASMEND
	;;#ASMSTART
	v_cvt_f32_f16 v15, v15;
	;;#ASMEND
	v_mul_f32_e32 v15, v3, v15
	v_and_b32_e32 v20, 0xffff, v12
	v_fmac_f32_e32 v15, v8, v14
	;;#ASMSTART
	v_cvt_f16_f32 v14, v15;

	;;#ASMEND
	;;#ASMSTART
	v_cvt_f32_f16 v15, v20;
	;;#ASMEND
	;;#ASMSTART
	v_cvt_f32_f16 v20, v21;
	;;#ASMEND
	v_mul_f32_e32 v20, v3, v20
	v_and_b32_e32 v21, 0xffff, v17
	v_lshrrev_b32_e32 v17, 16, v17
	v_fmac_f32_e32 v20, v8, v15
	v_lshrrev_b32_e32 v15, 16, v12
	;;#ASMSTART
	v_cvt_f16_f32 v12, v20;

	;;#ASMEND
	;;#ASMSTART
	v_cvt_f32_f16 v15, v15;
	;;#ASMEND
	;;#ASMSTART
	v_cvt_f32_f16 v16, v16;
	;;#ASMEND
	v_mul_f32_e32 v16, v3, v16
	v_and_b32_e32 v20, 0xffff, v13
	v_fmac_f32_e32 v16, v8, v15
	;;#ASMSTART
	v_cvt_f16_f32 v15, v16;

	;;#ASMEND
	;;#ASMSTART
	v_cvt_f32_f16 v16, v20;
	;;#ASMEND
	;;#ASMSTART
	v_cvt_f32_f16 v20, v21;
	;;#ASMEND
	v_mul_f32_e32 v20, v3, v20
	v_fmac_f32_e32 v20, v8, v16
	v_lshrrev_b32_e32 v16, 16, v13
	;;#ASMSTART
	v_cvt_f16_f32 v13, v20;

	;;#ASMEND
	;;#ASMSTART
	v_cvt_f32_f16 v16, v16;
	;;#ASMEND
	;;#ASMSTART
	v_cvt_f32_f16 v17, v17;
	;;#ASMEND
	v_mul_f32_e32 v17, v3, v17
	v_add_co_u32 v3, vcc_lo, s4, v4
	v_add_co_ci_u32_e64 v4, null, s5, v5, vcc_lo
	v_fmac_f32_e32 v17, v8, v16
	v_add_co_u32 v3, vcc_lo, v3, v18
	v_add_co_ci_u32_e64 v4, null, v4, v19, vcc_lo
	v_perm_b32 v8, v10, v9, 0x5040100
	v_perm_b32 v9, v14, v11, 0x5040100
	;;#ASMSTART
	v_cvt_f16_f32 v5, v17;

	;;#ASMEND
	v_perm_b32 v10, v15, v12, 0x5040100
	v_perm_b32 v11, v5, v13, 0x5040100
	global_store_dwordx4 v[3:4], v[8:11], off
.LBB1_3:
	s_or_b32 exec_lo, exec_lo, s1
	v_cmp_eq_u32_e32 vcc_lo, 0, v2
	s_cmp_lg_u64 s[6:7], 0
	s_cselect_b32 s0, -1, 0
	s_and_b32 s0, s0, vcc_lo
	s_and_b32 exec_lo, exec_lo, s0
	s_cbranch_execz .LBB1_5
; %bb.4:
	v_cmp_gt_f32_e32 vcc_lo, 0x800000, v7
	v_cndmask_b32_e64 v2, 0, 32, vcc_lo
	v_ldexp_f32 v2, v7, v2
	v_log_f32_e32 v2, v2
	v_mul_f32_e32 v3, 0x3f317217, v2
	v_cmp_gt_f32_e64 s0, 0x7f800000, |v2|
	v_fma_f32 v3, 0x3f317217, v2, -v3
	v_fmamk_f32 v3, v2, 0x3377d1cf, v3
	v_fmac_f32_e32 v3, 0x3f317217, v2
	v_cndmask_b32_e64 v2, v2, v3, s0
	v_cndmask_b32_e64 v3, 0, 0x41b17218, vcc_lo
	v_add_co_u32 v0, vcc_lo, s6, v0
	v_add_co_ci_u32_e64 v1, null, s7, v1, vcc_lo
	v_sub_f32_e32 v2, v2, v3
	v_add_f32_e32 v2, v6, v2
	global_store_dword v[0:1], v2, off
.LBB1_5:
	s_endpgm
	.section	.rodata,"a",@progbits
	.p2align	6, 0x0
	.amdhsa_kernel _ZN4vllm24merge_attn_states_kernelItLj128EEEvPT_PfPKS1_PKfS5_S7_jjj
		.amdhsa_group_segment_fixed_size 0
		.amdhsa_private_segment_fixed_size 0
		.amdhsa_kernarg_size 60
		.amdhsa_user_sgpr_count 6
		.amdhsa_user_sgpr_private_segment_buffer 1
		.amdhsa_user_sgpr_dispatch_ptr 0
		.amdhsa_user_sgpr_queue_ptr 0
		.amdhsa_user_sgpr_kernarg_segment_ptr 1
		.amdhsa_user_sgpr_dispatch_id 0
		.amdhsa_user_sgpr_flat_scratch_init 0
		.amdhsa_user_sgpr_private_segment_size 0
		.amdhsa_wavefront_size32 1
		.amdhsa_uses_dynamic_stack 0
		.amdhsa_system_sgpr_private_segment_wavefront_offset 0
		.amdhsa_system_sgpr_workgroup_id_x 1
		.amdhsa_system_sgpr_workgroup_id_y 0
		.amdhsa_system_sgpr_workgroup_id_z 0
		.amdhsa_system_sgpr_workgroup_info 0
		.amdhsa_system_vgpr_workitem_id 0
		.amdhsa_next_free_vgpr 29
		.amdhsa_next_free_sgpr 16
		.amdhsa_reserve_vcc 1
		.amdhsa_reserve_flat_scratch 0
		.amdhsa_float_round_mode_32 0
		.amdhsa_float_round_mode_16_64 0
		.amdhsa_float_denorm_mode_32 3
		.amdhsa_float_denorm_mode_16_64 3
		.amdhsa_dx10_clamp 1
		.amdhsa_ieee_mode 1
		.amdhsa_fp16_overflow 0
		.amdhsa_workgroup_processor_mode 1
		.amdhsa_memory_ordered 1
		.amdhsa_forward_progress 1
		.amdhsa_shared_vgpr_count 0
		.amdhsa_exception_fp_ieee_invalid_op 0
		.amdhsa_exception_fp_denorm_src 0
		.amdhsa_exception_fp_ieee_div_zero 0
		.amdhsa_exception_fp_ieee_overflow 0
		.amdhsa_exception_fp_ieee_underflow 0
		.amdhsa_exception_fp_ieee_inexact 0
		.amdhsa_exception_int_div_zero 0
	.end_amdhsa_kernel
	.section	.text._ZN4vllm24merge_attn_states_kernelItLj128EEEvPT_PfPKS1_PKfS5_S7_jjj,"axG",@progbits,_ZN4vllm24merge_attn_states_kernelItLj128EEEvPT_PfPKS1_PKfS5_S7_jjj,comdat
.Lfunc_end1:
	.size	_ZN4vllm24merge_attn_states_kernelItLj128EEEvPT_PfPKS1_PKfS5_S7_jjj, .Lfunc_end1-_ZN4vllm24merge_attn_states_kernelItLj128EEEvPT_PfPKS1_PKfS5_S7_jjj
                                        ; -- End function
	.set _ZN4vllm24merge_attn_states_kernelItLj128EEEvPT_PfPKS1_PKfS5_S7_jjj.num_vgpr, 29
	.set _ZN4vllm24merge_attn_states_kernelItLj128EEEvPT_PfPKS1_PKfS5_S7_jjj.num_agpr, 0
	.set _ZN4vllm24merge_attn_states_kernelItLj128EEEvPT_PfPKS1_PKfS5_S7_jjj.numbered_sgpr, 16
	.set _ZN4vllm24merge_attn_states_kernelItLj128EEEvPT_PfPKS1_PKfS5_S7_jjj.num_named_barrier, 0
	.set _ZN4vllm24merge_attn_states_kernelItLj128EEEvPT_PfPKS1_PKfS5_S7_jjj.private_seg_size, 0
	.set _ZN4vllm24merge_attn_states_kernelItLj128EEEvPT_PfPKS1_PKfS5_S7_jjj.uses_vcc, 1
	.set _ZN4vllm24merge_attn_states_kernelItLj128EEEvPT_PfPKS1_PKfS5_S7_jjj.uses_flat_scratch, 0
	.set _ZN4vllm24merge_attn_states_kernelItLj128EEEvPT_PfPKS1_PKfS5_S7_jjj.has_dyn_sized_stack, 0
	.set _ZN4vllm24merge_attn_states_kernelItLj128EEEvPT_PfPKS1_PKfS5_S7_jjj.has_recursion, 0
	.set _ZN4vllm24merge_attn_states_kernelItLj128EEEvPT_PfPKS1_PKfS5_S7_jjj.has_indirect_call, 0
	.section	.AMDGPU.csdata,"",@progbits
; Kernel info:
; codeLenInByte = 1760
; TotalNumSgprs: 18
; NumVgprs: 29
; ScratchSize: 0
; MemoryBound: 0
; FloatMode: 240
; IeeeMode: 1
; LDSByteSize: 0 bytes/workgroup (compile time only)
; SGPRBlocks: 0
; VGPRBlocks: 3
; NumSGPRsForWavesPerEU: 18
; NumVGPRsForWavesPerEU: 29
; Occupancy: 16
; WaveLimiterHint : 0
; COMPUTE_PGM_RSRC2:SCRATCH_EN: 0
; COMPUTE_PGM_RSRC2:USER_SGPR: 6
; COMPUTE_PGM_RSRC2:TRAP_HANDLER: 0
; COMPUTE_PGM_RSRC2:TGID_X_EN: 1
; COMPUTE_PGM_RSRC2:TGID_Y_EN: 0
; COMPUTE_PGM_RSRC2:TGID_Z_EN: 0
; COMPUTE_PGM_RSRC2:TIDIG_COMP_CNT: 0
	.section	.text._ZN4vllm24merge_attn_states_kernelI14__hip_bfloat16Lj128EEEvPT_PfPKS2_PKfS6_S8_jjj,"axG",@progbits,_ZN4vllm24merge_attn_states_kernelI14__hip_bfloat16Lj128EEEvPT_PfPKS2_PKfS6_S8_jjj,comdat
	.protected	_ZN4vllm24merge_attn_states_kernelI14__hip_bfloat16Lj128EEEvPT_PfPKS2_PKfS6_S8_jjj ; -- Begin function _ZN4vllm24merge_attn_states_kernelI14__hip_bfloat16Lj128EEEvPT_PfPKS2_PKfS6_S8_jjj
	.globl	_ZN4vllm24merge_attn_states_kernelI14__hip_bfloat16Lj128EEEvPT_PfPKS2_PKfS6_S8_jjj
	.p2align	8
	.type	_ZN4vllm24merge_attn_states_kernelI14__hip_bfloat16Lj128EEEvPT_PfPKS2_PKfS6_S8_jjj,@function
_ZN4vllm24merge_attn_states_kernelI14__hip_bfloat16Lj128EEEvPT_PfPKS2_PKfS6_S8_jjj: ; @_ZN4vllm24merge_attn_states_kernelI14__hip_bfloat16Lj128EEEvPT_PfPKS2_PKfS6_S8_jjj
; %bb.0:
	s_load_dwordx4 s[0:3], s[4:5], 0x30
	v_lshl_add_u32 v2, s6, 7, v0
	s_waitcnt lgkmcnt(0)
	s_lshr_b32 s3, s2, 3
	s_mul_i32 s6, s1, s0
	s_mul_i32 s6, s6, s3
	v_cmp_gt_u32_e32 vcc_lo, s6, v2
	s_and_saveexec_b32 s6, vcc_lo
	s_cbranch_execz .LBB2_5
; %bb.1:
	v_cvt_f32_u32_e32 v0, s3
	s_sub_i32 s6, 0, s3
	v_cvt_f32_u32_e32 v3, s1
	s_load_dwordx4 s[12:15], s[4:5], 0x20
	v_rcp_iflag_f32_e32 v0, v0
	v_rcp_iflag_f32_e32 v3, v3
	v_mul_f32_e32 v0, 0x4f7ffffe, v0
	v_cvt_u32_f32_e32 v0, v0
	v_mul_lo_u32 v1, s6, v0
	s_sub_i32 s6, 0, s1
	v_mul_hi_u32 v1, v0, v1
	v_add_nc_u32_e32 v0, v0, v1
	v_mul_f32_e32 v1, 0x4f7ffffe, v3
	v_mul_hi_u32 v0, v2, v0
	v_cvt_u32_f32_e32 v1, v1
	v_mul_lo_u32 v4, s6, v1
	s_load_dwordx8 s[4:11], s[4:5], 0x0
	v_mul_lo_u32 v3, v0, s3
	v_add_nc_u32_e32 v5, 1, v0
	v_mul_hi_u32 v4, v1, v4
	v_sub_nc_u32_e32 v3, v2, v3
	v_subrev_nc_u32_e32 v6, s3, v3
	v_cmp_le_u32_e32 vcc_lo, s3, v3
	v_add_nc_u32_e32 v1, v1, v4
	v_cndmask_b32_e32 v0, v0, v5, vcc_lo
	v_cndmask_b32_e32 v3, v3, v6, vcc_lo
	v_add_nc_u32_e32 v5, 1, v0
	v_cmp_le_u32_e32 vcc_lo, s3, v3
	v_cndmask_b32_e32 v3, v0, v5, vcc_lo
	v_mul_hi_u32 v0, v3, v1
	v_mul_lo_u32 v1, v0, s1
	v_add_nc_u32_e32 v4, 1, v0
	v_sub_nc_u32_e32 v1, v3, v1
	v_subrev_nc_u32_e32 v5, s1, v1
	v_cmp_le_u32_e32 vcc_lo, s1, v1
	v_cndmask_b32_e32 v0, v0, v4, vcc_lo
	v_cndmask_b32_e32 v1, v1, v5, vcc_lo
	v_add_nc_u32_e32 v4, 1, v0
	v_cmp_le_u32_e32 vcc_lo, s1, v1
	v_cndmask_b32_e32 v0, v0, v4, vcc_lo
	v_mul_lo_u32 v1, v0, s1
	s_mov_b32 s1, exec_lo
	v_sub_nc_u32_e32 v1, v3, v1
	v_mad_u64_u32 v[4:5], null, v1, s0, v[0:1]
	v_mov_b32_e32 v5, 0
	v_lshlrev_b64 v[0:1], 2, v[4:5]
	s_waitcnt lgkmcnt(0)
	v_add_co_u32 v6, vcc_lo, s14, v0
	v_add_co_ci_u32_e64 v7, null, s15, v1, vcc_lo
	v_add_co_u32 v8, vcc_lo, s10, v0
	v_add_co_ci_u32_e64 v9, null, s11, v1, vcc_lo
	global_load_dword v4, v[6:7], off
	global_load_dword v6, v[8:9], off
	s_waitcnt vmcnt(1)
	v_cmp_neq_f32_e64 vcc_lo, 0x7f800000, |v4|
	v_cndmask_b32_e32 v4, 0xff800000, v4, vcc_lo
	s_waitcnt vmcnt(0)
	v_cmp_neq_f32_e64 vcc_lo, 0x7f800000, |v6|
	v_cndmask_b32_e32 v7, 0xff800000, v6, vcc_lo
	v_max_f32_e32 v6, v4, v4
	v_max_f32_e32 v8, v7, v7
	;; [unrolled: 1-line block ×3, first 2 shown]
	v_sub_f32_e32 v7, v7, v6
	v_sub_f32_e32 v4, v4, v6
	v_mul_f32_e32 v8, 0x3fb8aa3b, v7
	v_mul_f32_e32 v9, 0x3fb8aa3b, v4
	v_cmp_ngt_f32_e32 vcc_lo, 0xc2ce8ed0, v7
	v_fma_f32 v10, 0x3fb8aa3b, v7, -v8
	v_rndne_f32_e32 v11, v8
	v_fma_f32 v12, 0x3fb8aa3b, v4, -v9
	v_rndne_f32_e32 v13, v9
	v_fmac_f32_e32 v10, 0x32a5705f, v7
	v_sub_f32_e32 v8, v8, v11
	v_fmac_f32_e32 v12, 0x32a5705f, v4
	v_sub_f32_e32 v9, v9, v13
	v_add_f32_e32 v8, v8, v10
	v_cvt_i32_f32_e32 v10, v11
	v_add_f32_e32 v9, v9, v12
	v_cvt_i32_f32_e32 v11, v13
	v_mul_lo_u32 v12, v3, s3
	v_exp_f32_e32 v8, v8
	v_exp_f32_e32 v9, v9
	v_sub_nc_u32_e32 v2, v2, v12
	v_ldexp_f32 v8, v8, v10
	v_ldexp_f32 v9, v9, v11
	v_cndmask_b32_e32 v8, 0, v8, vcc_lo
	v_cmp_ngt_f32_e32 vcc_lo, 0xc2ce8ed0, v4
	v_cndmask_b32_e32 v9, 0, v9, vcc_lo
	v_cmp_nlt_f32_e32 vcc_lo, 0x42b17218, v7
	v_cndmask_b32_e32 v8, 0x7f800000, v8, vcc_lo
	v_cmp_nlt_f32_e32 vcc_lo, 0x42b17218, v4
	v_lshlrev_b32_e32 v4, 3, v2
	v_cndmask_b32_e32 v9, 0x7f800000, v9, vcc_lo
	v_add_f32_e32 v7, v8, v9
	v_cmpx_gt_u32_e64 s2, v4
	s_cbranch_execz .LBB2_3
; %bb.2:
	v_mul_lo_u32 v4, v3, s2
	v_mov_b32_e32 v3, v5
	v_div_scale_f32 v20, null, v7, v7, v8
	v_lshlrev_b64 v[18:19], 4, v[2:3]
	v_rcp_f32_e32 v22, v20
	v_lshlrev_b64 v[4:5], 1, v[4:5]
	v_add_co_u32 v3, vcc_lo, s8, v4
	v_add_co_ci_u32_e64 v11, null, s9, v5, vcc_lo
	v_add_co_u32 v12, vcc_lo, s12, v4
	v_add_co_ci_u32_e64 v13, null, s13, v5, vcc_lo
	;; [unrolled: 2-line block ×4, first 2 shown]
	global_load_dwordx4 v[10:13], v[10:11], off
	global_load_dwordx4 v[14:17], v[14:15], off
	v_div_scale_f32 v3, null, v7, v7, v9
	v_fma_f32 v24, -v20, v22, 1.0
	v_div_scale_f32 v25, vcc_lo, v9, v7, v9
	v_rcp_f32_e32 v21, v3
	v_fmac_f32_e32 v22, v24, v22
	v_fma_f32 v23, -v3, v21, 1.0
	v_fmac_f32_e32 v21, v23, v21
	v_div_scale_f32 v23, s0, v8, v7, v8
	v_mul_f32_e32 v24, v25, v21
	v_mul_f32_e32 v26, v23, v22
	v_fma_f32 v27, -v3, v24, v25
	v_fma_f32 v28, -v20, v26, v23
	v_fmac_f32_e32 v24, v27, v21
	v_fmac_f32_e32 v26, v28, v22
	v_fma_f32 v3, -v3, v24, v25
	v_fma_f32 v20, -v20, v26, v23
	v_div_fmas_f32 v3, v3, v21, v24
	s_mov_b32 vcc_lo, s0
	v_div_fmas_f32 v20, v20, v22, v26
	v_add_co_u32 v4, vcc_lo, s4, v4
	v_div_fixup_f32 v3, v3, v7, v9
	v_add_co_ci_u32_e64 v5, null, s5, v5, vcc_lo
	v_div_fixup_f32 v8, v20, v7, v8
	s_waitcnt vmcnt(1)
	v_lshlrev_b32_e32 v9, 16, v10
	s_waitcnt vmcnt(0)
	v_lshlrev_b32_e32 v20, 16, v14
	v_and_b32_e32 v14, 0xffff0000, v14
	v_lshlrev_b32_e32 v22, 16, v15
	v_and_b32_e32 v15, 0xffff0000, v15
	;; [unrolled: 2-line block ×4, first 2 shown]
	v_mul_f32_e32 v20, v3, v20
	v_and_b32_e32 v10, 0xffff0000, v10
	v_lshlrev_b32_e32 v21, 16, v11
	v_and_b32_e32 v11, 0xffff0000, v11
	v_lshlrev_b32_e32 v23, 16, v12
	;; [unrolled: 2-line block ×3, first 2 shown]
	v_and_b32_e32 v13, 0xffff0000, v13
	v_mul_f32_e32 v14, v3, v14
	v_mul_f32_e32 v22, v3, v22
	;; [unrolled: 1-line block ×7, first 2 shown]
	v_fmac_f32_e32 v20, v8, v9
	v_fmac_f32_e32 v14, v8, v10
	;; [unrolled: 1-line block ×8, first 2 shown]
	v_bfe_u32 v8, v20, 16, 1
	v_or_b32_e32 v9, 0x400000, v20
	v_bfe_u32 v10, v14, 16, 1
	v_cmp_u_f32_e32 vcc_lo, v20, v20
	v_or_b32_e32 v11, 0x400000, v14
	v_add3_u32 v8, v8, v20, 0x7fff
	v_bfe_u32 v12, v22, 16, 1
	v_add3_u32 v10, v10, v14, 0x7fff
	v_or_b32_e32 v13, 0x400000, v22
	v_bfe_u32 v17, v15, 16, 1
	v_cndmask_b32_e32 v8, v8, v9, vcc_lo
	v_cmp_u_f32_e32 vcc_lo, v14, v14
	v_add3_u32 v12, v12, v22, 0x7fff
	v_or_b32_e32 v21, 0x400000, v15
	v_bfe_u32 v23, v24, 16, 1
	v_add3_u32 v17, v17, v15, 0x7fff
	v_cndmask_b32_e32 v14, v10, v11, vcc_lo
	v_cmp_u_f32_e32 vcc_lo, v22, v22
	v_or_b32_e32 v25, 0x400000, v24
	v_bfe_u32 v27, v16, 16, 1
	v_add3_u32 v23, v23, v24, 0x7fff
	v_or_b32_e32 v28, 0x400000, v16
	v_cndmask_b32_e32 v9, v12, v13, vcc_lo
	v_cmp_u_f32_e32 vcc_lo, v15, v15
	v_bfe_u32 v29, v26, 16, 1
	v_add3_u32 v27, v27, v16, 0x7fff
	v_or_b32_e32 v30, 0x400000, v26
	v_bfe_u32 v31, v3, 16, 1
	v_cndmask_b32_e32 v12, v17, v21, vcc_lo
	v_cmp_u_f32_e32 vcc_lo, v24, v24
	v_add3_u32 v29, v29, v26, 0x7fff
	v_or_b32_e32 v32, 0x400000, v3
	v_add3_u32 v31, v31, v3, 0x7fff
	v_perm_b32 v9, v12, v9, 0x7060302
	v_cndmask_b32_e32 v10, v23, v25, vcc_lo
	v_cmp_u_f32_e32 vcc_lo, v16, v16
	v_perm_b32 v8, v14, v8, 0x7060302
	v_cndmask_b32_e32 v13, v27, v28, vcc_lo
	v_cmp_u_f32_e32 vcc_lo, v26, v26
	;; [unrolled: 3-line block ×3, first 2 shown]
	v_cndmask_b32_e32 v15, v31, v32, vcc_lo
	v_add_co_u32 v3, vcc_lo, v4, v18
	v_add_co_ci_u32_e64 v4, null, v5, v19, vcc_lo
	v_perm_b32 v11, v15, v11, 0x7060302
	global_store_dwordx4 v[3:4], v[8:11], off
.LBB2_3:
	s_or_b32 exec_lo, exec_lo, s1
	v_cmp_eq_u32_e32 vcc_lo, 0, v2
	s_cmp_lg_u64 s[6:7], 0
	s_cselect_b32 s0, -1, 0
	s_and_b32 s0, s0, vcc_lo
	s_and_b32 exec_lo, exec_lo, s0
	s_cbranch_execz .LBB2_5
; %bb.4:
	v_cmp_gt_f32_e32 vcc_lo, 0x800000, v7
	v_cndmask_b32_e64 v2, 0, 32, vcc_lo
	v_ldexp_f32 v2, v7, v2
	v_log_f32_e32 v2, v2
	v_mul_f32_e32 v3, 0x3f317217, v2
	v_cmp_gt_f32_e64 s0, 0x7f800000, |v2|
	v_fma_f32 v3, 0x3f317217, v2, -v3
	v_fmamk_f32 v3, v2, 0x3377d1cf, v3
	v_fmac_f32_e32 v3, 0x3f317217, v2
	v_cndmask_b32_e64 v2, v2, v3, s0
	v_cndmask_b32_e64 v3, 0, 0x41b17218, vcc_lo
	v_add_co_u32 v0, vcc_lo, s6, v0
	v_add_co_ci_u32_e64 v1, null, s7, v1, vcc_lo
	v_sub_f32_e32 v2, v2, v3
	v_add_f32_e32 v2, v6, v2
	global_store_dword v[0:1], v2, off
.LBB2_5:
	s_endpgm
	.section	.rodata,"a",@progbits
	.p2align	6, 0x0
	.amdhsa_kernel _ZN4vllm24merge_attn_states_kernelI14__hip_bfloat16Lj128EEEvPT_PfPKS2_PKfS6_S8_jjj
		.amdhsa_group_segment_fixed_size 0
		.amdhsa_private_segment_fixed_size 0
		.amdhsa_kernarg_size 60
		.amdhsa_user_sgpr_count 6
		.amdhsa_user_sgpr_private_segment_buffer 1
		.amdhsa_user_sgpr_dispatch_ptr 0
		.amdhsa_user_sgpr_queue_ptr 0
		.amdhsa_user_sgpr_kernarg_segment_ptr 1
		.amdhsa_user_sgpr_dispatch_id 0
		.amdhsa_user_sgpr_flat_scratch_init 0
		.amdhsa_user_sgpr_private_segment_size 0
		.amdhsa_wavefront_size32 1
		.amdhsa_uses_dynamic_stack 0
		.amdhsa_system_sgpr_private_segment_wavefront_offset 0
		.amdhsa_system_sgpr_workgroup_id_x 1
		.amdhsa_system_sgpr_workgroup_id_y 0
		.amdhsa_system_sgpr_workgroup_id_z 0
		.amdhsa_system_sgpr_workgroup_info 0
		.amdhsa_system_vgpr_workitem_id 0
		.amdhsa_next_free_vgpr 33
		.amdhsa_next_free_sgpr 16
		.amdhsa_reserve_vcc 1
		.amdhsa_reserve_flat_scratch 0
		.amdhsa_float_round_mode_32 0
		.amdhsa_float_round_mode_16_64 0
		.amdhsa_float_denorm_mode_32 3
		.amdhsa_float_denorm_mode_16_64 3
		.amdhsa_dx10_clamp 1
		.amdhsa_ieee_mode 1
		.amdhsa_fp16_overflow 0
		.amdhsa_workgroup_processor_mode 1
		.amdhsa_memory_ordered 1
		.amdhsa_forward_progress 1
		.amdhsa_shared_vgpr_count 0
		.amdhsa_exception_fp_ieee_invalid_op 0
		.amdhsa_exception_fp_denorm_src 0
		.amdhsa_exception_fp_ieee_div_zero 0
		.amdhsa_exception_fp_ieee_overflow 0
		.amdhsa_exception_fp_ieee_underflow 0
		.amdhsa_exception_fp_ieee_inexact 0
		.amdhsa_exception_int_div_zero 0
	.end_amdhsa_kernel
	.section	.text._ZN4vllm24merge_attn_states_kernelI14__hip_bfloat16Lj128EEEvPT_PfPKS2_PKfS6_S8_jjj,"axG",@progbits,_ZN4vllm24merge_attn_states_kernelI14__hip_bfloat16Lj128EEEvPT_PfPKS2_PKfS6_S8_jjj,comdat
.Lfunc_end2:
	.size	_ZN4vllm24merge_attn_states_kernelI14__hip_bfloat16Lj128EEEvPT_PfPKS2_PKfS6_S8_jjj, .Lfunc_end2-_ZN4vllm24merge_attn_states_kernelI14__hip_bfloat16Lj128EEEvPT_PfPKS2_PKfS6_S8_jjj
                                        ; -- End function
	.set _ZN4vllm24merge_attn_states_kernelI14__hip_bfloat16Lj128EEEvPT_PfPKS2_PKfS6_S8_jjj.num_vgpr, 33
	.set _ZN4vllm24merge_attn_states_kernelI14__hip_bfloat16Lj128EEEvPT_PfPKS2_PKfS6_S8_jjj.num_agpr, 0
	.set _ZN4vllm24merge_attn_states_kernelI14__hip_bfloat16Lj128EEEvPT_PfPKS2_PKfS6_S8_jjj.numbered_sgpr, 16
	.set _ZN4vllm24merge_attn_states_kernelI14__hip_bfloat16Lj128EEEvPT_PfPKS2_PKfS6_S8_jjj.num_named_barrier, 0
	.set _ZN4vllm24merge_attn_states_kernelI14__hip_bfloat16Lj128EEEvPT_PfPKS2_PKfS6_S8_jjj.private_seg_size, 0
	.set _ZN4vllm24merge_attn_states_kernelI14__hip_bfloat16Lj128EEEvPT_PfPKS2_PKfS6_S8_jjj.uses_vcc, 1
	.set _ZN4vllm24merge_attn_states_kernelI14__hip_bfloat16Lj128EEEvPT_PfPKS2_PKfS6_S8_jjj.uses_flat_scratch, 0
	.set _ZN4vllm24merge_attn_states_kernelI14__hip_bfloat16Lj128EEEvPT_PfPKS2_PKfS6_S8_jjj.has_dyn_sized_stack, 0
	.set _ZN4vllm24merge_attn_states_kernelI14__hip_bfloat16Lj128EEEvPT_PfPKS2_PKfS6_S8_jjj.has_recursion, 0
	.set _ZN4vllm24merge_attn_states_kernelI14__hip_bfloat16Lj128EEEvPT_PfPKS2_PKfS6_S8_jjj.has_indirect_call, 0
	.section	.AMDGPU.csdata,"",@progbits
; Kernel info:
; codeLenInByte = 1568
; TotalNumSgprs: 18
; NumVgprs: 33
; ScratchSize: 0
; MemoryBound: 0
; FloatMode: 240
; IeeeMode: 1
; LDSByteSize: 0 bytes/workgroup (compile time only)
; SGPRBlocks: 0
; VGPRBlocks: 4
; NumSGPRsForWavesPerEU: 18
; NumVGPRsForWavesPerEU: 33
; Occupancy: 16
; WaveLimiterHint : 0
; COMPUTE_PGM_RSRC2:SCRATCH_EN: 0
; COMPUTE_PGM_RSRC2:USER_SGPR: 6
; COMPUTE_PGM_RSRC2:TRAP_HANDLER: 0
; COMPUTE_PGM_RSRC2:TGID_X_EN: 1
; COMPUTE_PGM_RSRC2:TGID_Y_EN: 0
; COMPUTE_PGM_RSRC2:TGID_Z_EN: 0
; COMPUTE_PGM_RSRC2:TIDIG_COMP_CNT: 0
	.section	.AMDGPU.gpr_maximums,"",@progbits
	.set amdgpu.max_num_vgpr, 0
	.set amdgpu.max_num_agpr, 0
	.set amdgpu.max_num_sgpr, 0
	.section	.AMDGPU.csdata,"",@progbits
	.type	__hip_cuid_3ebf27fa308b4c87,@object ; @__hip_cuid_3ebf27fa308b4c87
	.section	.bss,"aw",@nobits
	.globl	__hip_cuid_3ebf27fa308b4c87
__hip_cuid_3ebf27fa308b4c87:
	.byte	0                               ; 0x0
	.size	__hip_cuid_3ebf27fa308b4c87, 1

	.ident	"AMD clang version 22.0.0git (https://github.com/RadeonOpenCompute/llvm-project roc-7.2.4 26084 f58b06dce1f9c15707c5f808fd002e18c2accf7e)"
	.section	".note.GNU-stack","",@progbits
	.addrsig
	.addrsig_sym __hip_cuid_3ebf27fa308b4c87
	.amdgpu_metadata
---
amdhsa.kernels:
  - .args:
      - .address_space:  global
        .offset:         0
        .size:           8
        .value_kind:     global_buffer
      - .address_space:  global
        .offset:         8
        .size:           8
        .value_kind:     global_buffer
      - .address_space:  global
        .offset:         16
        .size:           8
        .value_kind:     global_buffer
      - .address_space:  global
        .offset:         24
        .size:           8
        .value_kind:     global_buffer
      - .address_space:  global
        .offset:         32
        .size:           8
        .value_kind:     global_buffer
      - .address_space:  global
        .offset:         40
        .size:           8
        .value_kind:     global_buffer
      - .offset:         48
        .size:           4
        .value_kind:     by_value
      - .offset:         52
        .size:           4
        .value_kind:     by_value
      - .offset:         56
        .size:           4
        .value_kind:     by_value
    .group_segment_fixed_size: 0
    .kernarg_segment_align: 8
    .kernarg_segment_size: 60
    .language:       OpenCL C
    .language_version:
      - 2
      - 0
    .max_flat_workgroup_size: 1024
    .name:           _ZN4vllm24merge_attn_states_kernelIfLj128EEEvPT_PfPKS1_PKfS5_S7_jjj
    .private_segment_fixed_size: 0
    .sgpr_count:     18
    .sgpr_spill_count: 0
    .symbol:         _ZN4vllm24merge_attn_states_kernelIfLj128EEEvPT_PfPKS1_PKfS5_S7_jjj.kd
    .uniform_work_group_size: 1
    .uses_dynamic_stack: false
    .vgpr_count:     29
    .vgpr_spill_count: 0
    .wavefront_size: 32
    .workgroup_processor_mode: 1
  - .args:
      - .address_space:  global
        .offset:         0
        .size:           8
        .value_kind:     global_buffer
      - .address_space:  global
        .offset:         8
        .size:           8
        .value_kind:     global_buffer
      - .address_space:  global
        .offset:         16
        .size:           8
        .value_kind:     global_buffer
      - .address_space:  global
        .offset:         24
        .size:           8
        .value_kind:     global_buffer
      - .address_space:  global
        .offset:         32
        .size:           8
        .value_kind:     global_buffer
      - .address_space:  global
        .offset:         40
        .size:           8
        .value_kind:     global_buffer
      - .offset:         48
        .size:           4
        .value_kind:     by_value
      - .offset:         52
        .size:           4
        .value_kind:     by_value
      - .offset:         56
        .size:           4
        .value_kind:     by_value
    .group_segment_fixed_size: 0
    .kernarg_segment_align: 8
    .kernarg_segment_size: 60
    .language:       OpenCL C
    .language_version:
      - 2
      - 0
    .max_flat_workgroup_size: 1024
    .name:           _ZN4vllm24merge_attn_states_kernelItLj128EEEvPT_PfPKS1_PKfS5_S7_jjj
    .private_segment_fixed_size: 0
    .sgpr_count:     18
    .sgpr_spill_count: 0
    .symbol:         _ZN4vllm24merge_attn_states_kernelItLj128EEEvPT_PfPKS1_PKfS5_S7_jjj.kd
    .uniform_work_group_size: 1
    .uses_dynamic_stack: false
    .vgpr_count:     29
    .vgpr_spill_count: 0
    .wavefront_size: 32
    .workgroup_processor_mode: 1
  - .args:
      - .address_space:  global
        .offset:         0
        .size:           8
        .value_kind:     global_buffer
      - .address_space:  global
        .offset:         8
        .size:           8
        .value_kind:     global_buffer
      - .address_space:  global
        .offset:         16
        .size:           8
        .value_kind:     global_buffer
      - .address_space:  global
        .offset:         24
        .size:           8
        .value_kind:     global_buffer
      - .address_space:  global
        .offset:         32
        .size:           8
        .value_kind:     global_buffer
      - .address_space:  global
        .offset:         40
        .size:           8
        .value_kind:     global_buffer
      - .offset:         48
        .size:           4
        .value_kind:     by_value
      - .offset:         52
        .size:           4
        .value_kind:     by_value
      - .offset:         56
        .size:           4
        .value_kind:     by_value
    .group_segment_fixed_size: 0
    .kernarg_segment_align: 8
    .kernarg_segment_size: 60
    .language:       OpenCL C
    .language_version:
      - 2
      - 0
    .max_flat_workgroup_size: 1024
    .name:           _ZN4vllm24merge_attn_states_kernelI14__hip_bfloat16Lj128EEEvPT_PfPKS2_PKfS6_S8_jjj
    .private_segment_fixed_size: 0
    .sgpr_count:     18
    .sgpr_spill_count: 0
    .symbol:         _ZN4vllm24merge_attn_states_kernelI14__hip_bfloat16Lj128EEEvPT_PfPKS2_PKfS6_S8_jjj.kd
    .uniform_work_group_size: 1
    .uses_dynamic_stack: false
    .vgpr_count:     33
    .vgpr_spill_count: 0
    .wavefront_size: 32
    .workgroup_processor_mode: 1
amdhsa.target:   amdgcn-amd-amdhsa--gfx1030
amdhsa.version:
  - 1
  - 2
...

	.end_amdgpu_metadata
